;; amdgpu-corpus repo=ROCm/rocFFT kind=compiled arch=gfx1100 opt=O3
	.text
	.amdgcn_target "amdgcn-amd-amdhsa--gfx1100"
	.amdhsa_code_object_version 6
	.protected	fft_rtc_fwd_len1617_factors_3_7_7_11_wgs_231_tpt_231_dp_op_CI_CI_unitstride_sbrr_dirReg ; -- Begin function fft_rtc_fwd_len1617_factors_3_7_7_11_wgs_231_tpt_231_dp_op_CI_CI_unitstride_sbrr_dirReg
	.globl	fft_rtc_fwd_len1617_factors_3_7_7_11_wgs_231_tpt_231_dp_op_CI_CI_unitstride_sbrr_dirReg
	.p2align	8
	.type	fft_rtc_fwd_len1617_factors_3_7_7_11_wgs_231_tpt_231_dp_op_CI_CI_unitstride_sbrr_dirReg,@function
fft_rtc_fwd_len1617_factors_3_7_7_11_wgs_231_tpt_231_dp_op_CI_CI_unitstride_sbrr_dirReg: ; @fft_rtc_fwd_len1617_factors_3_7_7_11_wgs_231_tpt_231_dp_op_CI_CI_unitstride_sbrr_dirReg
; %bb.0:
	s_clause 0x2
	s_load_b128 s[8:11], s[0:1], 0x0
	s_load_b128 s[4:7], s[0:1], 0x58
	;; [unrolled: 1-line block ×3, first 2 shown]
	v_mul_u32_u24_e32 v1, 0x11c, v0
	v_mov_b32_e32 v4, 0
	v_mov_b32_e32 v5, 0
	s_delay_alu instid0(VALU_DEP_3) | instskip(NEXT) | instid1(VALU_DEP_1)
	v_lshrrev_b32_e32 v2, 16, v1
	v_dual_mov_b32 v1, 0 :: v_dual_add_nc_u32 v6, s15, v2
	s_delay_alu instid0(VALU_DEP_1) | instskip(SKIP_2) | instid1(VALU_DEP_1)
	v_mov_b32_e32 v7, v1
	s_waitcnt lgkmcnt(0)
	v_cmp_lt_u64_e64 s2, s[10:11], 2
	s_and_b32 vcc_lo, exec_lo, s2
	s_cbranch_vccnz .LBB0_8
; %bb.1:
	s_load_b64 s[2:3], s[0:1], 0x10
	v_mov_b32_e32 v4, 0
	v_mov_b32_e32 v5, 0
	s_add_u32 s12, s18, 8
	s_addc_u32 s13, s19, 0
	s_add_u32 s14, s16, 8
	s_addc_u32 s15, s17, 0
	v_dual_mov_b32 v77, v5 :: v_dual_mov_b32 v76, v4
	s_mov_b64 s[22:23], 1
	s_waitcnt lgkmcnt(0)
	s_add_u32 s20, s2, 8
	s_addc_u32 s21, s3, 0
.LBB0_2:                                ; =>This Inner Loop Header: Depth=1
	s_load_b64 s[24:25], s[20:21], 0x0
                                        ; implicit-def: $vgpr79_vgpr80
	s_mov_b32 s2, exec_lo
	s_waitcnt lgkmcnt(0)
	v_or_b32_e32 v2, s25, v7
	s_delay_alu instid0(VALU_DEP_1)
	v_cmpx_ne_u64_e32 0, v[1:2]
	s_xor_b32 s3, exec_lo, s2
	s_cbranch_execz .LBB0_4
; %bb.3:                                ;   in Loop: Header=BB0_2 Depth=1
	v_cvt_f32_u32_e32 v2, s24
	v_cvt_f32_u32_e32 v3, s25
	s_sub_u32 s2, 0, s24
	s_subb_u32 s26, 0, s25
	s_delay_alu instid0(VALU_DEP_1) | instskip(NEXT) | instid1(VALU_DEP_1)
	v_fmac_f32_e32 v2, 0x4f800000, v3
	v_rcp_f32_e32 v2, v2
	s_waitcnt_depctr 0xfff
	v_mul_f32_e32 v2, 0x5f7ffffc, v2
	s_delay_alu instid0(VALU_DEP_1) | instskip(NEXT) | instid1(VALU_DEP_1)
	v_mul_f32_e32 v3, 0x2f800000, v2
	v_trunc_f32_e32 v3, v3
	s_delay_alu instid0(VALU_DEP_1) | instskip(SKIP_1) | instid1(VALU_DEP_2)
	v_fmac_f32_e32 v2, 0xcf800000, v3
	v_cvt_u32_f32_e32 v3, v3
	v_cvt_u32_f32_e32 v2, v2
	s_delay_alu instid0(VALU_DEP_2) | instskip(NEXT) | instid1(VALU_DEP_2)
	v_mul_lo_u32 v8, s2, v3
	v_mul_hi_u32 v9, s2, v2
	v_mul_lo_u32 v10, s26, v2
	s_delay_alu instid0(VALU_DEP_2) | instskip(SKIP_1) | instid1(VALU_DEP_2)
	v_add_nc_u32_e32 v8, v9, v8
	v_mul_lo_u32 v9, s2, v2
	v_add_nc_u32_e32 v8, v8, v10
	s_delay_alu instid0(VALU_DEP_2) | instskip(NEXT) | instid1(VALU_DEP_2)
	v_mul_hi_u32 v10, v2, v9
	v_mul_lo_u32 v11, v2, v8
	v_mul_hi_u32 v12, v2, v8
	v_mul_hi_u32 v13, v3, v9
	v_mul_lo_u32 v9, v3, v9
	v_mul_hi_u32 v14, v3, v8
	v_mul_lo_u32 v8, v3, v8
	v_add_co_u32 v10, vcc_lo, v10, v11
	v_add_co_ci_u32_e32 v11, vcc_lo, 0, v12, vcc_lo
	s_delay_alu instid0(VALU_DEP_2) | instskip(NEXT) | instid1(VALU_DEP_2)
	v_add_co_u32 v9, vcc_lo, v10, v9
	v_add_co_ci_u32_e32 v9, vcc_lo, v11, v13, vcc_lo
	v_add_co_ci_u32_e32 v10, vcc_lo, 0, v14, vcc_lo
	s_delay_alu instid0(VALU_DEP_2) | instskip(NEXT) | instid1(VALU_DEP_2)
	v_add_co_u32 v8, vcc_lo, v9, v8
	v_add_co_ci_u32_e32 v9, vcc_lo, 0, v10, vcc_lo
	s_delay_alu instid0(VALU_DEP_2) | instskip(NEXT) | instid1(VALU_DEP_2)
	v_add_co_u32 v2, vcc_lo, v2, v8
	v_add_co_ci_u32_e32 v3, vcc_lo, v3, v9, vcc_lo
	s_delay_alu instid0(VALU_DEP_2) | instskip(SKIP_1) | instid1(VALU_DEP_3)
	v_mul_hi_u32 v8, s2, v2
	v_mul_lo_u32 v10, s26, v2
	v_mul_lo_u32 v9, s2, v3
	s_delay_alu instid0(VALU_DEP_1) | instskip(SKIP_1) | instid1(VALU_DEP_2)
	v_add_nc_u32_e32 v8, v8, v9
	v_mul_lo_u32 v9, s2, v2
	v_add_nc_u32_e32 v8, v8, v10
	s_delay_alu instid0(VALU_DEP_2) | instskip(NEXT) | instid1(VALU_DEP_2)
	v_mul_hi_u32 v10, v2, v9
	v_mul_lo_u32 v11, v2, v8
	v_mul_hi_u32 v12, v2, v8
	v_mul_hi_u32 v13, v3, v9
	v_mul_lo_u32 v9, v3, v9
	v_mul_hi_u32 v14, v3, v8
	v_mul_lo_u32 v8, v3, v8
	v_add_co_u32 v10, vcc_lo, v10, v11
	v_add_co_ci_u32_e32 v11, vcc_lo, 0, v12, vcc_lo
	s_delay_alu instid0(VALU_DEP_2) | instskip(NEXT) | instid1(VALU_DEP_2)
	v_add_co_u32 v9, vcc_lo, v10, v9
	v_add_co_ci_u32_e32 v9, vcc_lo, v11, v13, vcc_lo
	v_add_co_ci_u32_e32 v10, vcc_lo, 0, v14, vcc_lo
	s_delay_alu instid0(VALU_DEP_2) | instskip(NEXT) | instid1(VALU_DEP_2)
	v_add_co_u32 v8, vcc_lo, v9, v8
	v_add_co_ci_u32_e32 v9, vcc_lo, 0, v10, vcc_lo
	s_delay_alu instid0(VALU_DEP_2) | instskip(NEXT) | instid1(VALU_DEP_2)
	v_add_co_u32 v10, vcc_lo, v2, v8
	v_add_co_ci_u32_e32 v12, vcc_lo, v3, v9, vcc_lo
	s_delay_alu instid0(VALU_DEP_2) | instskip(SKIP_1) | instid1(VALU_DEP_3)
	v_mul_hi_u32 v13, v6, v10
	v_mad_u64_u32 v[8:9], null, v7, v10, 0
	v_mad_u64_u32 v[2:3], null, v6, v12, 0
	;; [unrolled: 1-line block ×3, first 2 shown]
	s_delay_alu instid0(VALU_DEP_2) | instskip(NEXT) | instid1(VALU_DEP_3)
	v_add_co_u32 v2, vcc_lo, v13, v2
	v_add_co_ci_u32_e32 v3, vcc_lo, 0, v3, vcc_lo
	s_delay_alu instid0(VALU_DEP_2) | instskip(NEXT) | instid1(VALU_DEP_2)
	v_add_co_u32 v2, vcc_lo, v2, v8
	v_add_co_ci_u32_e32 v2, vcc_lo, v3, v9, vcc_lo
	v_add_co_ci_u32_e32 v3, vcc_lo, 0, v11, vcc_lo
	s_delay_alu instid0(VALU_DEP_2) | instskip(NEXT) | instid1(VALU_DEP_2)
	v_add_co_u32 v8, vcc_lo, v2, v10
	v_add_co_ci_u32_e32 v9, vcc_lo, 0, v3, vcc_lo
	s_delay_alu instid0(VALU_DEP_2) | instskip(SKIP_1) | instid1(VALU_DEP_3)
	v_mul_lo_u32 v10, s25, v8
	v_mad_u64_u32 v[2:3], null, s24, v8, 0
	v_mul_lo_u32 v11, s24, v9
	s_delay_alu instid0(VALU_DEP_2) | instskip(NEXT) | instid1(VALU_DEP_2)
	v_sub_co_u32 v2, vcc_lo, v6, v2
	v_add3_u32 v3, v3, v11, v10
	s_delay_alu instid0(VALU_DEP_1) | instskip(NEXT) | instid1(VALU_DEP_1)
	v_sub_nc_u32_e32 v10, v7, v3
	v_subrev_co_ci_u32_e64 v10, s2, s25, v10, vcc_lo
	v_add_co_u32 v11, s2, v8, 2
	s_delay_alu instid0(VALU_DEP_1) | instskip(SKIP_3) | instid1(VALU_DEP_3)
	v_add_co_ci_u32_e64 v12, s2, 0, v9, s2
	v_sub_co_u32 v13, s2, v2, s24
	v_sub_co_ci_u32_e32 v3, vcc_lo, v7, v3, vcc_lo
	v_subrev_co_ci_u32_e64 v10, s2, 0, v10, s2
	v_cmp_le_u32_e32 vcc_lo, s24, v13
	s_delay_alu instid0(VALU_DEP_3) | instskip(SKIP_1) | instid1(VALU_DEP_4)
	v_cmp_eq_u32_e64 s2, s25, v3
	v_cndmask_b32_e64 v13, 0, -1, vcc_lo
	v_cmp_le_u32_e32 vcc_lo, s25, v10
	v_cndmask_b32_e64 v14, 0, -1, vcc_lo
	v_cmp_le_u32_e32 vcc_lo, s24, v2
	;; [unrolled: 2-line block ×3, first 2 shown]
	v_cndmask_b32_e64 v15, 0, -1, vcc_lo
	v_cmp_eq_u32_e32 vcc_lo, s25, v10
	s_delay_alu instid0(VALU_DEP_2) | instskip(SKIP_3) | instid1(VALU_DEP_3)
	v_cndmask_b32_e64 v2, v15, v2, s2
	v_cndmask_b32_e32 v10, v14, v13, vcc_lo
	v_add_co_u32 v13, vcc_lo, v8, 1
	v_add_co_ci_u32_e32 v14, vcc_lo, 0, v9, vcc_lo
	v_cmp_ne_u32_e32 vcc_lo, 0, v10
	s_delay_alu instid0(VALU_DEP_2) | instskip(SKIP_1) | instid1(VALU_DEP_2)
	v_dual_cndmask_b32 v3, v14, v12 :: v_dual_cndmask_b32 v10, v13, v11
	v_cmp_ne_u32_e32 vcc_lo, 0, v2
	v_dual_cndmask_b32 v79, v8, v10 :: v_dual_cndmask_b32 v80, v9, v3
.LBB0_4:                                ;   in Loop: Header=BB0_2 Depth=1
	s_and_not1_saveexec_b32 s2, s3
	s_cbranch_execz .LBB0_6
; %bb.5:                                ;   in Loop: Header=BB0_2 Depth=1
	v_cvt_f32_u32_e32 v2, s24
	s_sub_i32 s3, 0, s24
	v_mov_b32_e32 v80, v1
	s_delay_alu instid0(VALU_DEP_2) | instskip(SKIP_2) | instid1(VALU_DEP_1)
	v_rcp_iflag_f32_e32 v2, v2
	s_waitcnt_depctr 0xfff
	v_mul_f32_e32 v2, 0x4f7ffffe, v2
	v_cvt_u32_f32_e32 v2, v2
	s_delay_alu instid0(VALU_DEP_1) | instskip(NEXT) | instid1(VALU_DEP_1)
	v_mul_lo_u32 v3, s3, v2
	v_mul_hi_u32 v3, v2, v3
	s_delay_alu instid0(VALU_DEP_1) | instskip(NEXT) | instid1(VALU_DEP_1)
	v_add_nc_u32_e32 v2, v2, v3
	v_mul_hi_u32 v2, v6, v2
	s_delay_alu instid0(VALU_DEP_1) | instskip(SKIP_1) | instid1(VALU_DEP_2)
	v_mul_lo_u32 v3, v2, s24
	v_add_nc_u32_e32 v8, 1, v2
	v_sub_nc_u32_e32 v3, v6, v3
	s_delay_alu instid0(VALU_DEP_1) | instskip(SKIP_1) | instid1(VALU_DEP_2)
	v_subrev_nc_u32_e32 v9, s24, v3
	v_cmp_le_u32_e32 vcc_lo, s24, v3
	v_dual_cndmask_b32 v3, v3, v9 :: v_dual_cndmask_b32 v2, v2, v8
	s_delay_alu instid0(VALU_DEP_1) | instskip(NEXT) | instid1(VALU_DEP_2)
	v_cmp_le_u32_e32 vcc_lo, s24, v3
	v_add_nc_u32_e32 v8, 1, v2
	s_delay_alu instid0(VALU_DEP_1)
	v_cndmask_b32_e32 v79, v2, v8, vcc_lo
.LBB0_6:                                ;   in Loop: Header=BB0_2 Depth=1
	s_or_b32 exec_lo, exec_lo, s2
	s_delay_alu instid0(VALU_DEP_1) | instskip(NEXT) | instid1(VALU_DEP_2)
	v_mul_lo_u32 v8, v80, s24
	v_mul_lo_u32 v9, v79, s25
	s_load_b64 s[2:3], s[14:15], 0x0
	v_mad_u64_u32 v[2:3], null, v79, s24, 0
	s_load_b64 s[24:25], s[12:13], 0x0
	s_add_u32 s22, s22, 1
	s_addc_u32 s23, s23, 0
	s_add_u32 s12, s12, 8
	s_addc_u32 s13, s13, 0
	s_add_u32 s14, s14, 8
	s_delay_alu instid0(VALU_DEP_1) | instskip(SKIP_3) | instid1(VALU_DEP_2)
	v_add3_u32 v3, v3, v9, v8
	v_sub_co_u32 v8, vcc_lo, v6, v2
	s_addc_u32 s15, s15, 0
	s_add_u32 s20, s20, 8
	v_sub_co_ci_u32_e32 v6, vcc_lo, v7, v3, vcc_lo
	s_addc_u32 s21, s21, 0
	s_waitcnt lgkmcnt(0)
	s_delay_alu instid0(VALU_DEP_1)
	v_mul_lo_u32 v9, s2, v6
	v_mul_lo_u32 v10, s3, v8
	v_mad_u64_u32 v[2:3], null, s2, v8, v[4:5]
	v_mul_lo_u32 v11, s24, v6
	v_mul_lo_u32 v12, s25, v8
	v_mad_u64_u32 v[6:7], null, s24, v8, v[76:77]
	v_cmp_ge_u64_e64 s2, s[22:23], s[10:11]
	v_add3_u32 v5, v10, v3, v9
	v_mov_b32_e32 v4, v2
	s_delay_alu instid0(VALU_DEP_4)
	v_add3_u32 v77, v12, v7, v11
	v_mov_b32_e32 v76, v6
	s_and_b32 vcc_lo, exec_lo, s2
	s_cbranch_vccnz .LBB0_9
; %bb.7:                                ;   in Loop: Header=BB0_2 Depth=1
	v_dual_mov_b32 v6, v79 :: v_dual_mov_b32 v7, v80
	s_branch .LBB0_2
.LBB0_8:
	v_dual_mov_b32 v77, v5 :: v_dual_mov_b32 v76, v4
	v_dual_mov_b32 v80, v7 :: v_dual_mov_b32 v79, v6
.LBB0_9:
	s_load_b64 s[0:1], s[0:1], 0x28
	v_mul_hi_u32 v1, 0x11bb4a5, v0
	s_lshl_b64 s[10:11], s[10:11], 3
                                        ; implicit-def: $vgpr78
	s_delay_alu instid0(SALU_CYCLE_1) | instskip(SKIP_4) | instid1(VALU_DEP_1)
	s_add_u32 s2, s18, s10
	s_addc_u32 s3, s19, s11
	s_waitcnt lgkmcnt(0)
	v_cmp_gt_u64_e32 vcc_lo, s[0:1], v[79:80]
	v_cmp_le_u64_e64 s0, s[0:1], v[79:80]
	s_and_saveexec_b32 s1, s0
	s_delay_alu instid0(SALU_CYCLE_1)
	s_xor_b32 s0, exec_lo, s1
; %bb.10:
	v_mul_u32_u24_e32 v1, 0xe7, v1
                                        ; implicit-def: $vgpr4_vgpr5
	s_delay_alu instid0(VALU_DEP_1)
	v_sub_nc_u32_e32 v78, v0, v1
                                        ; implicit-def: $vgpr1
                                        ; implicit-def: $vgpr0
; %bb.11:
	s_or_saveexec_b32 s1, s0
	s_load_b64 s[2:3], s[2:3], 0x0
                                        ; implicit-def: $vgpr18_vgpr19
                                        ; implicit-def: $vgpr14_vgpr15
                                        ; implicit-def: $vgpr10_vgpr11
                                        ; implicit-def: $vgpr2_vgpr3
                                        ; implicit-def: $vgpr26_vgpr27
                                        ; implicit-def: $vgpr22_vgpr23
                                        ; implicit-def: $vgpr6_vgpr7
                                        ; implicit-def: $vgpr34_vgpr35
                                        ; implicit-def: $vgpr30_vgpr31
	s_xor_b32 exec_lo, exec_lo, s1
	s_cbranch_execz .LBB0_15
; %bb.12:
	s_add_u32 s10, s16, s10
	s_addc_u32 s11, s17, s11
                                        ; implicit-def: $vgpr12_vgpr13
                                        ; implicit-def: $vgpr16_vgpr17
	s_load_b64 s[10:11], s[10:11], 0x0
	s_waitcnt lgkmcnt(0)
	v_mul_lo_u32 v6, s11, v79
	v_mul_lo_u32 v7, s10, v80
	v_mad_u64_u32 v[2:3], null, s10, v79, 0
	s_delay_alu instid0(VALU_DEP_1) | instskip(SKIP_1) | instid1(VALU_DEP_2)
	v_add3_u32 v3, v3, v7, v6
	v_mul_u32_u24_e32 v6, 0xe7, v1
	v_lshlrev_b64 v[1:2], 4, v[2:3]
	v_lshlrev_b64 v[3:4], 4, v[4:5]
	s_delay_alu instid0(VALU_DEP_3) | instskip(NEXT) | instid1(VALU_DEP_3)
	v_sub_nc_u32_e32 v78, v0, v6
	v_add_co_u32 v0, s0, s4, v1
	s_delay_alu instid0(VALU_DEP_1) | instskip(NEXT) | instid1(VALU_DEP_3)
	v_add_co_ci_u32_e64 v1, s0, s5, v2, s0
	v_lshlrev_b32_e32 v2, 4, v78
	s_delay_alu instid0(VALU_DEP_3) | instskip(NEXT) | instid1(VALU_DEP_1)
	v_add_co_u32 v0, s0, v0, v3
	v_add_co_ci_u32_e64 v1, s0, v1, v4, s0
	s_mov_b32 s4, exec_lo
	s_delay_alu instid0(VALU_DEP_2) | instskip(NEXT) | instid1(VALU_DEP_1)
	v_add_co_u32 v10, s0, v0, v2
	v_add_co_ci_u32_e64 v11, s0, 0, v1, s0
	s_delay_alu instid0(VALU_DEP_2) | instskip(NEXT) | instid1(VALU_DEP_1)
	v_add_co_u32 v0, s0, 0x2000, v10
	v_add_co_ci_u32_e64 v1, s0, 0, v11, s0
	v_add_co_u32 v2, s0, 0x4000, v10
	s_delay_alu instid0(VALU_DEP_1) | instskip(SKIP_1) | instid1(VALU_DEP_1)
	v_add_co_ci_u32_e64 v3, s0, 0, v11, s0
	v_add_co_u32 v14, s0, 0x3000, v10
	v_add_co_ci_u32_e64 v15, s0, 0, v11, s0
	v_add_co_u32 v8, s0, 0x5000, v10
	s_delay_alu instid0(VALU_DEP_1)
	v_add_co_ci_u32_e64 v9, s0, 0, v11, s0
	s_clause 0x5
	global_load_b128 v[28:31], v[10:11], off
	global_load_b128 v[20:23], v[10:11], off offset:3696
	global_load_b128 v[32:35], v[0:1], off offset:432
	;; [unrolled: 1-line block ×5, first 2 shown]
                                        ; implicit-def: $vgpr8_vgpr9
	v_cmpx_gt_u32_e32 0x4d, v78
; %bb.13:
	v_add_co_u32 v8, s0, 0x1000, v10
	s_delay_alu instid0(VALU_DEP_1) | instskip(SKIP_1) | instid1(VALU_DEP_1)
	v_add_co_ci_u32_e64 v9, s0, 0, v11, s0
	v_add_co_u32 v16, s0, 0x6000, v10
	v_add_co_ci_u32_e64 v17, s0, 0, v11, s0
	s_clause 0x2
	global_load_b128 v[8:11], v[8:9], off offset:3296
	global_load_b128 v[12:15], v[14:15], off offset:3728
	;; [unrolled: 1-line block ×3, first 2 shown]
; %bb.14:
	s_or_b32 exec_lo, exec_lo, s4
.LBB0_15:
	s_delay_alu instid0(SALU_CYCLE_1)
	s_or_b32 exec_lo, exec_lo, s1
	s_waitcnt vmcnt(0)
	v_add_f64 v[44:45], v[16:17], v[12:13]
	v_add_f64 v[46:47], v[18:19], v[14:15]
	;; [unrolled: 1-line block ×7, first 2 shown]
	v_add_f64 v[50:51], v[34:35], -v[6:7]
	v_add_f64 v[34:35], v[34:35], v[30:31]
	v_add_f64 v[52:53], v[24:25], v[20:21]
	;; [unrolled: 1-line block ×3, first 2 shown]
	v_add_f64 v[64:65], v[14:15], -v[18:19]
	v_add_f64 v[68:69], v[12:13], -v[16:17]
	;; [unrolled: 1-line block ×5, first 2 shown]
	s_mov_b32 s0, 0xe8584caa
	s_mov_b32 s1, 0x3febb67a
	;; [unrolled: 1-line block ×4, first 2 shown]
	v_fma_f64 v[66:67], v[44:45], -0.5, v[8:9]
	v_fma_f64 v[45:46], v[46:47], -0.5, v[10:11]
	;; [unrolled: 1-line block ×6, first 2 shown]
	v_add_f64 v[20:21], v[4:5], v[48:49]
	v_add_f64 v[22:23], v[6:7], v[34:35]
	;; [unrolled: 1-line block ×4, first 2 shown]
	v_fma_f64 v[0:1], v[64:65], s[0:1], v[66:67]
	v_fma_f64 v[4:5], v[64:65], s[4:5], v[66:67]
	;; [unrolled: 1-line block ×12, first 2 shown]
	v_mad_u32_u24 v36, v78, 48, 0
	s_mov_b32 s1, exec_lo
	ds_store_b128 v36, v[20:23]
	ds_store_b128 v36, v[28:31] offset:16
	ds_store_b128 v36, v[32:35] offset:32
	;; [unrolled: 1-line block ×5, first 2 shown]
	v_cmpx_gt_u32_e32 0x4d, v78
	s_cbranch_execz .LBB0_17
; %bb.16:
	v_add_f64 v[10:11], v[14:15], v[10:11]
	v_add_f64 v[8:9], v[12:13], v[8:9]
	s_delay_alu instid0(VALU_DEP_2) | instskip(NEXT) | instid1(VALU_DEP_2)
	v_add_f64 v[10:11], v[18:19], v[10:11]
	v_add_f64 v[8:9], v[16:17], v[8:9]
	ds_store_b128 v36, v[8:11] offset:22176
	ds_store_b128 v36, v[0:3] offset:22192
	;; [unrolled: 1-line block ×3, first 2 shown]
.LBB0_17:
	s_or_b32 exec_lo, exec_lo, s1
	v_and_b32_e32 v35, 0xff, v78
	s_waitcnt lgkmcnt(0)
	s_barrier
	buffer_gl0_inv
	v_lshlrev_b32_e32 v37, 5, v78
	v_mul_lo_u16 v8, 0xab, v35
	s_mov_b32 s4, 0x37e14327
	s_mov_b32 s10, 0xe976ee23
	;; [unrolled: 1-line block ×4, first 2 shown]
	v_lshrrev_b16 v72, 9, v8
	s_mov_b32 s0, 0x429ad128
	s_mov_b32 s1, 0x3febfeb5
	;; [unrolled: 1-line block ×4, first 2 shown]
	v_mul_lo_u16 v8, v72, 3
	s_mov_b32 s14, 0xaaaaaaaa
	s_mov_b32 s20, 0xb247c609
	;; [unrolled: 1-line block ×4, first 2 shown]
	v_sub_nc_u16 v8, v78, v8
	s_mov_b32 s21, 0x3fd5d0dc
	s_mov_b32 s17, 0x3fe77f67
	;; [unrolled: 1-line block ×4, first 2 shown]
	v_and_b32_e32 v73, 0xff, v8
	s_mov_b32 s18, s16
	s_mov_b32 s22, s20
	;; [unrolled: 1-line block ×4, first 2 shown]
	v_mul_u32_u24_e32 v8, 6, v73
	s_delay_alu instid0(VALU_DEP_1)
	v_lshlrev_b32_e32 v8, 4, v8
	s_clause 0x5
	global_load_b128 v[9:12], v8, s[8:9]
	global_load_b128 v[13:16], v8, s[8:9] offset:16
	global_load_b128 v[17:20], v8, s[8:9] offset:80
	;; [unrolled: 1-line block ×5, first 2 shown]
	v_sub_nc_u32_e32 v8, v36, v37
	ds_load_b128 v[38:41], v8 offset:3696
	ds_load_b128 v[42:45], v8 offset:7392
	ds_load_b128 v[46:49], v8 offset:22176
	ds_load_b128 v[50:53], v8 offset:18480
	ds_load_b128 v[54:57], v8 offset:11088
	ds_load_b128 v[58:61], v8 offset:14784
	s_waitcnt vmcnt(5) lgkmcnt(5)
	v_mul_f64 v[33:34], v[40:41], v[11:12]
	v_mul_f64 v[11:12], v[38:39], v[11:12]
	s_waitcnt vmcnt(4) lgkmcnt(4)
	v_mul_f64 v[62:63], v[44:45], v[15:16]
	v_mul_f64 v[15:16], v[42:43], v[15:16]
	;; [unrolled: 3-line block ×6, first 2 shown]
	v_fma_f64 v[33:34], v[38:39], v[9:10], -v[33:34]
	v_fma_f64 v[9:10], v[40:41], v[9:10], v[11:12]
	v_fma_f64 v[11:12], v[42:43], v[13:14], -v[62:63]
	v_fma_f64 v[13:14], v[44:45], v[13:14], v[15:16]
	v_fma_f64 v[15:16], v[46:47], v[17:18], -v[64:65]
	v_fma_f64 v[17:18], v[48:49], v[17:18], v[19:20]
	v_fma_f64 v[19:20], v[50:51], v[21:22], -v[66:67]
	v_fma_f64 v[21:22], v[52:53], v[21:22], v[23:24]
	v_fma_f64 v[23:24], v[54:55], v[25:26], -v[68:69]
	v_fma_f64 v[25:26], v[56:57], v[25:26], v[27:28]
	v_fma_f64 v[27:28], v[58:59], v[29:30], -v[70:71]
	v_fma_f64 v[29:30], v[60:61], v[29:30], v[31:32]
	v_add_f64 v[31:32], v[33:34], v[15:16]
	v_add_f64 v[38:39], v[9:10], v[17:18]
	;; [unrolled: 1-line block ×4, first 2 shown]
	v_add_f64 v[19:20], v[11:12], -v[19:20]
	v_add_f64 v[13:14], v[13:14], -v[21:22]
	v_add_f64 v[11:12], v[23:24], v[27:28]
	v_add_f64 v[21:22], v[25:26], v[29:30]
	v_add_f64 v[23:24], v[27:28], -v[23:24]
	v_add_f64 v[25:26], v[29:30], -v[25:26]
	;; [unrolled: 1-line block ×4, first 2 shown]
	v_add_f64 v[9:10], v[40:41], v[31:32]
	v_add_f64 v[27:28], v[42:43], v[38:39]
	v_add_f64 v[29:30], v[31:32], -v[11:12]
	v_add_f64 v[33:34], v[38:39], -v[21:22]
	;; [unrolled: 1-line block ×7, first 2 shown]
	v_add_f64 v[19:20], v[23:24], v[19:20]
	v_add_f64 v[13:14], v[25:26], v[13:14]
	v_add_f64 v[23:24], v[15:16], -v[23:24]
	v_add_f64 v[25:26], v[17:18], -v[25:26]
	;; [unrolled: 1-line block ×4, first 2 shown]
	v_add_f64 v[52:53], v[11:12], v[9:10]
	v_add_f64 v[27:28], v[21:22], v[27:28]
	v_add_f64 v[21:22], v[21:22], -v[42:43]
	ds_load_b128 v[9:12], v8
	v_mul_f64 v[29:30], v[29:30], s[4:5]
	v_mul_f64 v[33:34], v[33:34], s[4:5]
	;; [unrolled: 1-line block ×7, first 2 shown]
	v_add_f64 v[15:16], v[19:20], v[15:16]
	v_add_f64 v[13:14], v[13:14], v[17:18]
	s_waitcnt lgkmcnt(0)
	s_barrier
	buffer_gl0_inv
	v_add_f64 v[9:10], v[9:10], v[52:53]
	v_add_f64 v[11:12], v[11:12], v[27:28]
	v_mul_f64 v[42:43], v[21:22], s[12:13]
	v_fma_f64 v[17:18], v[54:55], s[12:13], v[29:30]
	v_fma_f64 v[19:20], v[21:22], s[12:13], v[33:34]
	;; [unrolled: 1-line block ×4, first 2 shown]
	v_fma_f64 v[44:45], v[48:49], s[0:1], -v[44:45]
	v_fma_f64 v[23:24], v[23:24], s[22:23], -v[56:57]
	;; [unrolled: 1-line block ×7, first 2 shown]
	v_fma_f64 v[48:49], v[52:53], s[14:15], v[9:10]
	v_fma_f64 v[27:28], v[27:28], s[14:15], v[11:12]
	v_fma_f64 v[38:39], v[38:39], s[16:17], -v[42:43]
	v_fma_f64 v[40:41], v[15:16], s[24:25], v[21:22]
	v_fma_f64 v[42:43], v[13:14], s[24:25], v[54:55]
	;; [unrolled: 1-line block ×6, first 2 shown]
	v_mul_lo_u16 v13, 0x87, v35
	s_delay_alu instid0(VALU_DEP_1) | instskip(NEXT) | instid1(VALU_DEP_1)
	v_lshrrev_b16 v13, 8, v13
	v_sub_nc_u16 v14, v78, v13
	s_delay_alu instid0(VALU_DEP_1) | instskip(NEXT) | instid1(VALU_DEP_1)
	v_lshrrev_b16 v14, 1, v14
	v_and_b32_e32 v14, 0x7f, v14
	v_add_f64 v[54:55], v[17:18], v[48:49]
	v_add_f64 v[56:57], v[19:20], v[27:28]
	;; [unrolled: 1-line block ×6, first 2 shown]
	v_add_nc_u16 v35, v14, v13
	v_add_f64 v[13:14], v[42:43], v[54:55]
	v_add_f64 v[15:16], v[56:57], -v[40:41]
	v_add_f64 v[17:18], v[52:53], v[29:30]
	v_add_f64 v[19:20], v[33:34], -v[50:51]
	v_add_f64 v[21:22], v[25:26], -v[46:47]
	v_add_f64 v[23:24], v[44:45], v[27:28]
	v_add_f64 v[31:32], v[50:51], v[33:34]
	v_lshrrev_b16 v33, 4, v35
	v_add_f64 v[25:26], v[46:47], v[25:26]
	v_add_f64 v[27:28], v[27:28], -v[44:45]
	v_add_f64 v[29:30], v[29:30], -v[52:53]
	;; [unrolled: 1-line block ×3, first 2 shown]
	v_add_f64 v[40:41], v[40:41], v[56:57]
	v_and_b32_e32 v74, 15, v33
	v_and_b32_e32 v34, 0xffff, v72
	s_delay_alu instid0(VALU_DEP_2) | instskip(NEXT) | instid1(VALU_DEP_2)
	v_mul_lo_u16 v33, v74, 21
	v_mul_u32_u24_e32 v34, 0x150, v34
	s_delay_alu instid0(VALU_DEP_2) | instskip(NEXT) | instid1(VALU_DEP_1)
	v_sub_nc_u16 v33, v78, v33
	v_and_b32_e32 v72, 0xff, v33
	v_lshlrev_b32_e32 v33, 4, v73
	s_delay_alu instid0(VALU_DEP_2) | instskip(NEXT) | instid1(VALU_DEP_2)
	v_mul_u32_u24_e32 v35, 6, v72
	v_add3_u32 v33, 0, v34, v33
	ds_store_b128 v33, v[9:12]
	ds_store_b128 v33, v[13:16] offset:48
	ds_store_b128 v33, v[17:20] offset:96
	;; [unrolled: 1-line block ×6, first 2 shown]
	v_lshlrev_b32_e32 v34, 4, v35
	s_waitcnt lgkmcnt(0)
	s_barrier
	buffer_gl0_inv
	s_clause 0x5
	global_load_b128 v[9:12], v34, s[8:9] offset:288
	global_load_b128 v[13:16], v34, s[8:9] offset:304
	;; [unrolled: 1-line block ×6, first 2 shown]
	ds_load_b128 v[38:41], v8 offset:3696
	ds_load_b128 v[42:45], v8 offset:7392
	ds_load_b128 v[46:49], v8 offset:22176
	ds_load_b128 v[50:53], v8 offset:18480
	ds_load_b128 v[54:57], v8 offset:11088
	ds_load_b128 v[58:61], v8 offset:14784
	s_waitcnt vmcnt(5) lgkmcnt(5)
	v_mul_f64 v[33:34], v[40:41], v[11:12]
	v_mul_f64 v[11:12], v[38:39], v[11:12]
	s_waitcnt vmcnt(4) lgkmcnt(4)
	v_mul_f64 v[62:63], v[44:45], v[15:16]
	v_mul_f64 v[15:16], v[42:43], v[15:16]
	;; [unrolled: 3-line block ×6, first 2 shown]
	v_fma_f64 v[33:34], v[38:39], v[9:10], -v[33:34]
	v_fma_f64 v[9:10], v[40:41], v[9:10], v[11:12]
	v_fma_f64 v[11:12], v[42:43], v[13:14], -v[62:63]
	v_fma_f64 v[13:14], v[44:45], v[13:14], v[15:16]
	;; [unrolled: 2-line block ×6, first 2 shown]
	v_add_f64 v[31:32], v[33:34], v[15:16]
	v_add_f64 v[38:39], v[9:10], v[17:18]
	;; [unrolled: 1-line block ×4, first 2 shown]
	v_add_f64 v[19:20], v[11:12], -v[19:20]
	v_add_f64 v[12:13], v[13:14], -v[21:22]
	v_add_f64 v[21:22], v[23:24], v[27:28]
	v_add_f64 v[44:45], v[25:26], v[29:30]
	v_add_f64 v[23:24], v[27:28], -v[23:24]
	v_add_f64 v[25:26], v[29:30], -v[25:26]
	;; [unrolled: 1-line block ×4, first 2 shown]
	v_add_f64 v[9:10], v[40:41], v[31:32]
	v_add_f64 v[27:28], v[42:43], v[38:39]
	v_add_f64 v[29:30], v[31:32], -v[21:22]
	v_add_f64 v[33:34], v[38:39], -v[44:45]
	v_add_f64 v[46:47], v[23:24], -v[19:20]
	v_add_f64 v[48:49], v[25:26], -v[12:13]
	v_add_f64 v[50:51], v[19:20], -v[14:15]
	v_add_f64 v[52:53], v[12:13], -v[16:17]
	v_add_f64 v[18:19], v[23:24], v[19:20]
	v_add_f64 v[12:13], v[25:26], v[12:13]
	v_add_f64 v[23:24], v[14:15], -v[23:24]
	v_add_f64 v[25:26], v[16:17], -v[25:26]
	;; [unrolled: 1-line block ×4, first 2 shown]
	v_add_f64 v[54:55], v[21:22], v[9:10]
	v_add_f64 v[27:28], v[44:45], v[27:28]
	v_add_f64 v[21:22], v[21:22], -v[40:41]
	v_add_f64 v[44:45], v[44:45], -v[42:43]
	ds_load_b128 v[8:11], v8
	v_mul_f64 v[29:30], v[29:30], s[4:5]
	v_mul_f64 v[33:34], v[33:34], s[4:5]
	;; [unrolled: 1-line block ×6, first 2 shown]
	v_add_f64 v[14:15], v[18:19], v[14:15]
	v_add_f64 v[12:13], v[12:13], v[16:17]
	s_waitcnt lgkmcnt(0)
	s_barrier
	buffer_gl0_inv
	v_add_f64 v[8:9], v[8:9], v[54:55]
	v_add_f64 v[10:11], v[10:11], v[27:28]
	v_mul_f64 v[40:41], v[21:22], s[12:13]
	v_mul_f64 v[42:43], v[44:45], s[12:13]
	v_fma_f64 v[16:17], v[21:22], s[12:13], v[29:30]
	v_fma_f64 v[18:19], v[44:45], s[12:13], v[33:34]
	;; [unrolled: 1-line block ×4, first 2 shown]
	v_fma_f64 v[46:47], v[50:51], s[0:1], -v[46:47]
	v_fma_f64 v[48:49], v[52:53], s[0:1], -v[48:49]
	;; [unrolled: 1-line block ×5, first 2 shown]
	v_cmp_gt_u32_e64 s0, 0x93, v78
	v_fma_f64 v[50:51], v[54:55], s[14:15], v[8:9]
	v_fma_f64 v[26:27], v[27:28], s[14:15], v[10:11]
	v_fma_f64 v[28:29], v[31:32], s[18:19], -v[29:30]
	v_fma_f64 v[30:31], v[31:32], s[16:17], -v[40:41]
	;; [unrolled: 1-line block ×3, first 2 shown]
	v_fma_f64 v[40:41], v[14:15], s[24:25], v[20:21]
	v_fma_f64 v[42:43], v[12:13], s[24:25], v[44:45]
	;; [unrolled: 1-line block ×6, first 2 shown]
	v_add_f64 v[48:49], v[16:17], v[50:51]
	v_add_f64 v[52:53], v[18:19], v[26:27]
	;; [unrolled: 1-line block ×6, first 2 shown]
	v_and_b32_e32 v38, 0xffff, v74
	v_lshlrev_b32_e32 v39, 4, v72
	s_delay_alu instid0(VALU_DEP_2) | instskip(NEXT) | instid1(VALU_DEP_1)
	v_mul_u32_u24_e32 v38, 0x930, v38
	v_add3_u32 v38, 0, v38, v39
	v_add_f64 v[32:33], v[42:43], v[48:49]
	v_add_f64 v[34:35], v[52:53], -v[40:41]
	v_add_f64 v[28:29], v[24:25], v[16:17]
	v_add_f64 v[30:31], v[18:19], -v[46:47]
	v_add_f64 v[12:13], v[22:23], -v[20:21]
	v_add_f64 v[14:15], v[44:45], v[26:27]
	v_add_f64 v[20:21], v[20:21], v[22:23]
	v_add_f64 v[22:23], v[26:27], -v[44:45]
	v_add_f64 v[16:17], v[16:17], -v[24:25]
	v_add_f64 v[18:19], v[46:47], v[18:19]
	v_add_f64 v[24:25], v[48:49], -v[42:43]
	v_add_f64 v[26:27], v[40:41], v[52:53]
                                        ; implicit-def: $vgpr42_vgpr43
	ds_store_b128 v38, v[8:11]
	ds_store_b128 v38, v[32:35] offset:336
	ds_store_b128 v38, v[28:31] offset:672
	;; [unrolled: 1-line block ×6, first 2 shown]
	s_waitcnt lgkmcnt(0)
	s_barrier
	buffer_gl0_inv
                                        ; implicit-def: $vgpr38_vgpr39
	s_and_saveexec_b32 s1, s0
	s_cbranch_execz .LBB0_19
; %bb.18:
	v_sub_nc_u32_e32 v0, 0, v37
	s_delay_alu instid0(VALU_DEP_1)
	v_add_nc_u32_e32 v40, v36, v0
	ds_load_b128 v[8:11], v40
	ds_load_b128 v[32:35], v40 offset:2352
	ds_load_b128 v[28:31], v40 offset:4704
	ds_load_b128 v[12:15], v40 offset:7056
	ds_load_b128 v[20:23], v40 offset:9408
	ds_load_b128 v[16:19], v40 offset:11760
	ds_load_b128 v[24:27], v40 offset:14112
	ds_load_b128 v[0:3], v40 offset:16464
	ds_load_b128 v[4:7], v40 offset:18816
	ds_load_b128 v[36:39], v40 offset:21168
	ds_load_b128 v[40:43], v40 offset:23520
.LBB0_19:
	s_or_b32 exec_lo, exec_lo, s1
	v_cmp_gt_u32_e64 s1, 0x93, v78
	s_delay_alu instid0(VALU_DEP_1) | instskip(NEXT) | instid1(SALU_CYCLE_1)
	s_and_b32 s1, vcc_lo, s1
	s_and_saveexec_b32 s4, s1
	s_cbranch_execz .LBB0_21
; %bb.20:
	v_mov_b32_e32 v82, 0
	v_add_nc_u32_e32 v44, 0xffffff6d, v78
	s_mov_b32 s4, 0xd9c712b6
	s_mov_b32 s12, 0x7f775887
	s_mov_b32 s16, 0xbb3a28a1
	s_mov_b32 s10, 0x9bcd5057
	v_cndmask_b32_e64 v44, v44, v78, s0
	s_mov_b32 s0, 0x640f44db
	s_mov_b32 s14, 0xfd768dbf
	;; [unrolled: 1-line block ×4, first 2 shown]
	v_mul_i32_i24_e32 v81, 10, v44
	s_mov_b32 s1, 0xbfc2375f
	s_mov_b32 s5, 0x3fda9628
	;; [unrolled: 1-line block ×4, first 2 shown]
	v_lshlrev_b64 v[44:45], 4, v[81:82]
	s_mov_b32 s11, 0xbfeeb42a
	s_mov_b32 s15, 0x3fd207e7
	;; [unrolled: 1-line block ×5, first 2 shown]
	v_add_co_u32 v44, vcc_lo, s8, v44
	v_add_co_ci_u32_e32 v45, vcc_lo, s9, v45, vcc_lo
	s_mov_b32 s8, 0x43842ef
	s_mov_b32 s35, 0xbfed1bb4
	s_clause 0x9
	global_load_b128 v[83:86], v[44:45], off offset:2304
	global_load_b128 v[56:59], v[44:45], off offset:2448
	;; [unrolled: 1-line block ×10, first 2 shown]
	s_mov_b32 s20, s14
	s_mov_b32 s22, s16
	;; [unrolled: 1-line block ×11, first 2 shown]
	v_mul_lo_u32 v205, s3, v79
	v_mul_lo_u32 v206, s2, v80
	s_waitcnt vmcnt(9) lgkmcnt(9)
	v_mul_f64 v[91:92], v[34:35], v[83:84]
	v_mul_f64 v[34:35], v[34:35], v[85:86]
	s_waitcnt vmcnt(8) lgkmcnt(0)
	v_mul_f64 v[93:94], v[42:43], v[56:57]
	s_waitcnt vmcnt(7)
	v_mul_f64 v[95:96], v[22:23], v[52:53]
	s_waitcnt vmcnt(6)
	;; [unrolled: 2-line block ×3, first 2 shown]
	v_mul_f64 v[99:100], v[38:39], v[72:73]
	v_mul_f64 v[107:108], v[30:31], v[89:90]
	s_waitcnt vmcnt(2)
	v_mul_f64 v[105:106], v[2:3], v[60:61]
	v_mul_f64 v[101:102], v[14:15], v[68:69]
	;; [unrolled: 1-line block ×7, first 2 shown]
	s_waitcnt vmcnt(0)
	v_mul_f64 v[115:116], v[26:27], v[44:45]
	v_mul_f64 v[119:120], v[26:27], v[46:47]
	v_mul_f64 v[113:114], v[18:19], v[48:49]
	v_mul_f64 v[117:118], v[18:19], v[50:51]
	v_fma_f64 v[85:86], v[32:33], v[85:86], v[91:92]
	v_fma_f64 v[32:33], v[32:33], v[83:84], -v[34:35]
	v_mul_f64 v[83:84], v[14:15], v[70:71]
	v_mul_f64 v[91:92], v[6:7], v[66:67]
	v_fma_f64 v[2:3], v[40:41], v[58:59], v[93:94]
	v_fma_f64 v[30:31], v[20:21], v[54:55], v[95:96]
	;; [unrolled: 1-line block ×5, first 2 shown]
	v_fma_f64 v[28:29], v[28:29], v[87:88], -v[107:108]
	v_fma_f64 v[34:35], v[12:13], v[70:71], v[101:102]
	v_fma_f64 v[14:15], v[4:5], v[66:67], v[103:104]
	v_fma_f64 v[26:27], v[36:37], v[72:73], -v[38:39]
	v_fma_f64 v[20:21], v[20:21], v[52:53], -v[109:110]
	v_fma_f64 v[38:39], v[24:25], v[46:47], v[115:116]
	v_fma_f64 v[24:25], v[24:25], v[44:45], -v[119:120]
	v_fma_f64 v[18:19], v[40:41], v[56:57], -v[42:43]
	;; [unrolled: 3-line block ×3, first 2 shown]
	v_mad_u64_u32 v[56:57], null, s2, v79, 0
	s_delay_alu instid0(VALU_DEP_1)
	v_add3_u32 v57, v57, v206, v205
	v_add_f64 v[58:59], v[10:11], v[85:86]
	v_add_f64 v[62:63], v[8:9], v[32:33]
	v_fma_f64 v[12:13], v[12:13], v[68:69], -v[83:84]
	v_fma_f64 v[4:5], v[4:5], v[64:65], -v[91:92]
	v_add_f64 v[40:41], v[85:86], v[2:3]
	v_add_f64 v[42:43], v[85:86], -v[2:3]
	v_add_f64 v[44:45], v[54:55], v[6:7]
	v_add_f64 v[46:47], v[54:55], -v[6:7]
	;; [unrolled: 2-line block ×4, first 2 shown]
	v_add_f64 v[60:61], v[28:29], -v[26:27]
	v_add_f64 v[70:71], v[36:37], v[38:39]
	v_add_f64 v[72:73], v[36:37], -v[38:39]
	v_add_f64 v[64:65], v[20:21], -v[0:1]
	v_add_f64 v[85:86], v[20:21], v[0:1]
	v_add_f64 v[74:75], v[16:17], -v[24:25]
	v_add_f64 v[79:80], v[16:17], v[24:25]
	v_add_f64 v[52:53], v[54:55], v[58:59]
	;; [unrolled: 1-line block ×3, first 2 shown]
	v_add_f64 v[58:59], v[32:33], -v[18:19]
	v_add_f64 v[62:63], v[12:13], -v[4:5]
	v_add_f64 v[68:69], v[12:13], v[4:5]
	v_add_f64 v[32:33], v[32:33], v[18:19]
	v_mul_f64 v[87:88], v[40:41], s[10:11]
	v_mul_f64 v[89:90], v[42:43], s[20:21]
	;; [unrolled: 1-line block ×10, first 2 shown]
	v_add_f64 v[28:29], v[28:29], v[26:27]
	v_mul_f64 v[103:104], v[44:45], s[18:19]
	v_mul_f64 v[105:106], v[46:47], s[28:29]
	;; [unrolled: 1-line block ×21, first 2 shown]
	v_add_f64 v[34:35], v[34:35], v[52:53]
	v_add_f64 v[12:13], v[12:13], v[54:55]
	v_mul_f64 v[111:112], v[50:51], s[0:1]
	v_mul_f64 v[139:140], v[83:84], s[30:31]
	;; [unrolled: 1-line block ×6, first 2 shown]
	v_fma_f64 v[163:164], v[58:59], s[16:17], v[91:92]
	v_fma_f64 v[165:166], v[32:33], s[12:13], v[93:94]
	;; [unrolled: 1-line block ×3, first 2 shown]
	v_fma_f64 v[93:94], v[32:33], s[12:13], -v[93:94]
	v_fma_f64 v[167:168], v[58:59], s[8:9], v[95:96]
	v_fma_f64 v[95:96], v[58:59], s[26:27], v[95:96]
	;; [unrolled: 1-line block ×7, first 2 shown]
	v_fma_f64 v[97:98], v[32:33], s[0:1], -v[97:98]
	v_fma_f64 v[175:176], v[32:33], s[18:19], v[42:43]
	v_fma_f64 v[189:190], v[60:61], s[26:27], v[119:120]
	;; [unrolled: 1-line block ×6, first 2 shown]
	v_fma_f64 v[125:126], v[28:29], s[0:1], -v[125:126]
	v_fma_f64 v[195:196], v[28:29], s[10:11], v[127:128]
	v_fma_f64 v[127:128], v[28:29], s[10:11], -v[127:128]
	v_fma_f64 v[197:198], v[28:29], s[12:13], v[129:130]
	;; [unrolled: 2-line block ×3, first 2 shown]
	v_fma_f64 v[177:178], v[62:63], s[16:17], v[107:108]
	v_fma_f64 v[107:108], v[62:63], s[22:23], v[107:108]
	;; [unrolled: 1-line block ×5, first 2 shown]
	v_fma_f64 v[137:138], v[68:69], s[10:11], -v[137:138]
	v_add_f64 v[30:31], v[30:31], v[34:35]
	v_add_f64 v[12:13], v[20:21], v[12:13]
	v_fma_f64 v[20:21], v[58:59], s[14:15], v[87:88]
	v_fma_f64 v[34:35], v[32:33], s[10:11], v[89:90]
	;; [unrolled: 1-line block ×3, first 2 shown]
	v_fma_f64 v[89:90], v[32:33], s[10:11], -v[89:90]
	v_fma_f64 v[58:59], v[32:33], s[4:5], v[101:102]
	v_fma_f64 v[101:102], v[32:33], s[4:5], -v[101:102]
	v_fma_f64 v[32:33], v[32:33], s[18:19], -v[42:43]
	v_fma_f64 v[42:43], v[60:61], s[24:25], v[103:104]
	v_fma_f64 v[103:104], v[60:61], s[28:29], v[103:104]
	v_add_f64 v[91:92], v[10:11], v[91:92]
	v_add_f64 v[93:94], v[8:9], v[93:94]
	;; [unrolled: 1-line block ×3, first 2 shown]
	v_fma_f64 v[203:204], v[68:69], s[0:1], v[66:67]
	v_add_f64 v[99:100], v[10:11], v[99:100]
	v_fma_f64 v[66:67], v[68:69], s[0:1], -v[66:67]
	v_mul_f64 v[50:51], v[50:51], s[12:13]
	v_mul_f64 v[141:142], v[83:84], s[20:21]
	v_add_f64 v[97:98], v[8:9], v[97:98]
	v_mul_f64 v[83:84], v[83:84], s[22:23]
	v_mul_f64 v[147:148], v[70:71], s[0:1]
	;; [unrolled: 1-line block ×8, first 2 shown]
	v_fma_f64 v[179:180], v[64:65], s[34:35], v[109:110]
	v_fma_f64 v[109:110], v[64:65], s[30:31], v[109:110]
	v_fma_f64 v[185:186], v[64:65], s[26:27], v[111:112]
	v_fma_f64 v[111:112], v[64:65], s[8:9], v[111:112]
	v_mul_f64 v[159:160], v[72:73], s[22:23]
	v_fma_f64 v[181:182], v[64:65], s[14:15], v[52:53]
	v_fma_f64 v[52:53], v[64:65], s[20:21], v[52:53]
	;; [unrolled: 1-line block ×4, first 2 shown]
	v_mul_f64 v[157:158], v[72:73], s[30:31]
	v_add_f64 v[30:31], v[36:37], v[30:31]
	v_add_f64 v[12:13], v[16:17], v[12:13]
	v_fma_f64 v[16:17], v[60:61], s[20:21], v[121:122]
	v_fma_f64 v[36:37], v[60:61], s[14:15], v[121:122]
	;; [unrolled: 1-line block ×5, first 2 shown]
	v_fma_f64 v[105:106], v[28:29], s[18:19], -v[105:106]
	v_fma_f64 v[28:29], v[28:29], s[4:5], -v[46:47]
	v_add_f64 v[20:21], v[10:11], v[20:21]
	v_add_f64 v[34:35], v[8:9], v[34:35]
	;; [unrolled: 1-line block ×15, first 2 shown]
	v_fma_f64 v[40:41], v[62:63], s[20:21], v[117:118]
	v_fma_f64 v[173:174], v[68:69], s[18:19], v[133:134]
	v_fma_f64 v[133:134], v[68:69], s[18:19], -v[133:134]
	v_fma_f64 v[175:176], v[68:69], s[4:5], v[135:136]
	v_fma_f64 v[135:136], v[68:69], s[4:5], -v[135:136]
	v_mul_f64 v[72:73], v[72:73], s[20:21]
	v_add_f64 v[30:31], v[38:39], v[30:31]
	v_add_f64 v[12:13], v[24:25], v[12:13]
	v_fma_f64 v[24:25], v[62:63], s[34:35], v[115:116]
	v_fma_f64 v[38:39], v[62:63], s[30:31], v[115:116]
	;; [unrolled: 1-line block ×6, first 2 shown]
	v_fma_f64 v[131:132], v[68:69], s[12:13], -v[131:132]
	v_add_f64 v[20:21], v[42:43], v[20:21]
	v_add_f64 v[34:35], v[60:61], v[34:35]
	;; [unrolled: 1-line block ×20, first 2 shown]
	v_fma_f64 v[32:33], v[85:86], s[4:5], v[139:140]
	v_fma_f64 v[44:45], v[85:86], s[4:5], -v[139:140]
	v_fma_f64 v[121:122], v[85:86], s[0:1], -v[145:146]
	;; [unrolled: 1-line block ×3, first 2 shown]
	v_fma_f64 v[103:104], v[85:86], s[18:19], v[143:144]
	v_fma_f64 v[119:120], v[85:86], s[0:1], v[145:146]
	;; [unrolled: 1-line block ×3, first 2 shown]
	v_fma_f64 v[83:84], v[85:86], s[12:13], -v[83:84]
	v_fma_f64 v[127:128], v[74:75], s[26:27], v[147:148]
	v_add_f64 v[22:23], v[22:23], v[30:31]
	v_add_f64 v[0:1], v[0:1], v[12:13]
	v_fma_f64 v[12:13], v[64:65], s[16:17], v[50:51]
	v_fma_f64 v[30:31], v[64:65], s[22:23], v[50:51]
	;; [unrolled: 1-line block ×3, first 2 shown]
	v_fma_f64 v[64:65], v[85:86], s[10:11], -v[141:142]
	v_fma_f64 v[85:86], v[74:75], s[8:9], v[147:148]
	v_fma_f64 v[129:130], v[74:75], s[34:35], v[151:152]
	;; [unrolled: 1-line block ×3, first 2 shown]
	v_add_f64 v[20:21], v[177:178], v[20:21]
	v_add_f64 v[34:35], v[62:63], v[34:35]
	;; [unrolled: 1-line block ×5, first 2 shown]
	v_fma_f64 v[131:132], v[79:80], s[18:19], -v[161:162]
	v_fma_f64 v[107:108], v[79:80], s[4:5], -v[157:158]
	v_add_f64 v[16:17], v[24:25], v[16:17]
	v_add_f64 v[24:25], v[38:39], v[36:37]
	;; [unrolled: 1-line block ×15, first 2 shown]
	v_fma_f64 v[48:49], v[74:75], s[16:17], v[153:154]
	v_fma_f64 v[66:67], v[74:75], s[22:23], v[153:154]
	;; [unrolled: 1-line block ×6, first 2 shown]
	v_fma_f64 v[115:116], v[79:80], s[12:13], -v[159:160]
	v_add_f64 v[14:15], v[14:15], v[22:23]
	v_add_f64 v[0:1], v[4:5], v[0:1]
	v_fma_f64 v[22:23], v[74:75], s[30:31], v[151:152]
	v_fma_f64 v[74:75], v[79:80], s[0:1], -v[149:150]
	v_fma_f64 v[101:102], v[79:80], s[4:5], v[157:158]
	v_fma_f64 v[113:114], v[79:80], s[12:13], v[159:160]
	;; [unrolled: 1-line block ×4, first 2 shown]
	v_fma_f64 v[72:73], v[79:80], s[10:11], -v[72:73]
	v_mov_b32_e32 v79, v82
	v_add_f64 v[4:5], v[179:180], v[20:21]
	v_add_f64 v[20:21], v[32:33], v[34:35]
	;; [unrolled: 1-line block ×22, first 2 shown]
	v_lshlrev_b64 v[6:7], 4, v[56:57]
	v_lshlrev_b64 v[56:57], 4, v[76:77]
	;; [unrolled: 1-line block ×3, first 2 shown]
	s_delay_alu instid0(VALU_DEP_3) | instskip(NEXT) | instid1(VALU_DEP_4)
	v_add_co_u32 v78, vcc_lo, s6, v6
	v_add_co_ci_u32_e32 v79, vcc_lo, s7, v7, vcc_lo
	v_add_f64 v[10:11], v[127:128], v[32:33]
	v_add_f64 v[8:9], v[74:75], v[34:35]
	;; [unrolled: 1-line block ×20, first 2 shown]
	v_add_co_u32 v16, vcc_lo, v78, v56
	v_add_co_ci_u32_e32 v17, vcc_lo, v79, v57, vcc_lo
	s_delay_alu instid0(VALU_DEP_2) | instskip(SKIP_2) | instid1(VALU_DEP_4)
	v_add_co_u32 v16, vcc_lo, v16, v76
	v_add_f64 v[2:3], v[2:3], v[80:81]
	v_add_f64 v[0:1], v[18:19], v[0:1]
	v_add_co_ci_u32_e32 v17, vcc_lo, v17, v77, vcc_lo
	s_delay_alu instid0(VALU_DEP_4) | instskip(NEXT) | instid1(VALU_DEP_2)
	v_add_co_u32 v18, vcc_lo, 0x1000, v16
	v_add_co_ci_u32_e32 v19, vcc_lo, 0, v17, vcc_lo
	v_add_co_u32 v48, vcc_lo, 0x2000, v16
	v_add_co_ci_u32_e32 v49, vcc_lo, 0, v17, vcc_lo
	;; [unrolled: 2-line block ×5, first 2 shown]
	s_clause 0xa
	global_store_b128 v[18:19], v[32:35], off offset:608
	global_store_b128 v[18:19], v[28:31], off offset:2960
	;; [unrolled: 1-line block ×9, first 2 shown]
	global_store_b128 v[16:17], v[0:3], off
	global_store_b128 v[54:55], v[40:43], off offset:3040
.LBB0_21:
	s_nop 0
	s_sendmsg sendmsg(MSG_DEALLOC_VGPRS)
	s_endpgm
	.section	.rodata,"a",@progbits
	.p2align	6, 0x0
	.amdhsa_kernel fft_rtc_fwd_len1617_factors_3_7_7_11_wgs_231_tpt_231_dp_op_CI_CI_unitstride_sbrr_dirReg
		.amdhsa_group_segment_fixed_size 0
		.amdhsa_private_segment_fixed_size 0
		.amdhsa_kernarg_size 104
		.amdhsa_user_sgpr_count 15
		.amdhsa_user_sgpr_dispatch_ptr 0
		.amdhsa_user_sgpr_queue_ptr 0
		.amdhsa_user_sgpr_kernarg_segment_ptr 1
		.amdhsa_user_sgpr_dispatch_id 0
		.amdhsa_user_sgpr_private_segment_size 0
		.amdhsa_wavefront_size32 1
		.amdhsa_uses_dynamic_stack 0
		.amdhsa_enable_private_segment 0
		.amdhsa_system_sgpr_workgroup_id_x 1
		.amdhsa_system_sgpr_workgroup_id_y 0
		.amdhsa_system_sgpr_workgroup_id_z 0
		.amdhsa_system_sgpr_workgroup_info 0
		.amdhsa_system_vgpr_workitem_id 0
		.amdhsa_next_free_vgpr 207
		.amdhsa_next_free_sgpr 36
		.amdhsa_reserve_vcc 1
		.amdhsa_float_round_mode_32 0
		.amdhsa_float_round_mode_16_64 0
		.amdhsa_float_denorm_mode_32 3
		.amdhsa_float_denorm_mode_16_64 3
		.amdhsa_dx10_clamp 1
		.amdhsa_ieee_mode 1
		.amdhsa_fp16_overflow 0
		.amdhsa_workgroup_processor_mode 1
		.amdhsa_memory_ordered 1
		.amdhsa_forward_progress 0
		.amdhsa_shared_vgpr_count 0
		.amdhsa_exception_fp_ieee_invalid_op 0
		.amdhsa_exception_fp_denorm_src 0
		.amdhsa_exception_fp_ieee_div_zero 0
		.amdhsa_exception_fp_ieee_overflow 0
		.amdhsa_exception_fp_ieee_underflow 0
		.amdhsa_exception_fp_ieee_inexact 0
		.amdhsa_exception_int_div_zero 0
	.end_amdhsa_kernel
	.text
.Lfunc_end0:
	.size	fft_rtc_fwd_len1617_factors_3_7_7_11_wgs_231_tpt_231_dp_op_CI_CI_unitstride_sbrr_dirReg, .Lfunc_end0-fft_rtc_fwd_len1617_factors_3_7_7_11_wgs_231_tpt_231_dp_op_CI_CI_unitstride_sbrr_dirReg
                                        ; -- End function
	.section	.AMDGPU.csdata,"",@progbits
; Kernel info:
; codeLenInByte = 8236
; NumSgprs: 38
; NumVgprs: 207
; ScratchSize: 0
; MemoryBound: 1
; FloatMode: 240
; IeeeMode: 1
; LDSByteSize: 0 bytes/workgroup (compile time only)
; SGPRBlocks: 4
; VGPRBlocks: 25
; NumSGPRsForWavesPerEU: 38
; NumVGPRsForWavesPerEU: 207
; Occupancy: 7
; WaveLimiterHint : 1
; COMPUTE_PGM_RSRC2:SCRATCH_EN: 0
; COMPUTE_PGM_RSRC2:USER_SGPR: 15
; COMPUTE_PGM_RSRC2:TRAP_HANDLER: 0
; COMPUTE_PGM_RSRC2:TGID_X_EN: 1
; COMPUTE_PGM_RSRC2:TGID_Y_EN: 0
; COMPUTE_PGM_RSRC2:TGID_Z_EN: 0
; COMPUTE_PGM_RSRC2:TIDIG_COMP_CNT: 0
	.text
	.p2alignl 7, 3214868480
	.fill 96, 4, 3214868480
	.type	__hip_cuid_35543cf8a713d82b,@object ; @__hip_cuid_35543cf8a713d82b
	.section	.bss,"aw",@nobits
	.globl	__hip_cuid_35543cf8a713d82b
__hip_cuid_35543cf8a713d82b:
	.byte	0                               ; 0x0
	.size	__hip_cuid_35543cf8a713d82b, 1

	.ident	"AMD clang version 19.0.0git (https://github.com/RadeonOpenCompute/llvm-project roc-6.4.0 25133 c7fe45cf4b819c5991fe208aaa96edf142730f1d)"
	.section	".note.GNU-stack","",@progbits
	.addrsig
	.addrsig_sym __hip_cuid_35543cf8a713d82b
	.amdgpu_metadata
---
amdhsa.kernels:
  - .args:
      - .actual_access:  read_only
        .address_space:  global
        .offset:         0
        .size:           8
        .value_kind:     global_buffer
      - .offset:         8
        .size:           8
        .value_kind:     by_value
      - .actual_access:  read_only
        .address_space:  global
        .offset:         16
        .size:           8
        .value_kind:     global_buffer
      - .actual_access:  read_only
        .address_space:  global
        .offset:         24
        .size:           8
        .value_kind:     global_buffer
      - .actual_access:  read_only
        .address_space:  global
        .offset:         32
        .size:           8
        .value_kind:     global_buffer
      - .offset:         40
        .size:           8
        .value_kind:     by_value
      - .actual_access:  read_only
        .address_space:  global
        .offset:         48
        .size:           8
        .value_kind:     global_buffer
      - .actual_access:  read_only
        .address_space:  global
        .offset:         56
        .size:           8
        .value_kind:     global_buffer
      - .offset:         64
        .size:           4
        .value_kind:     by_value
      - .actual_access:  read_only
        .address_space:  global
        .offset:         72
        .size:           8
        .value_kind:     global_buffer
      - .actual_access:  read_only
        .address_space:  global
        .offset:         80
        .size:           8
        .value_kind:     global_buffer
      - .actual_access:  read_only
        .address_space:  global
        .offset:         88
        .size:           8
        .value_kind:     global_buffer
      - .actual_access:  write_only
        .address_space:  global
        .offset:         96
        .size:           8
        .value_kind:     global_buffer
    .group_segment_fixed_size: 0
    .kernarg_segment_align: 8
    .kernarg_segment_size: 104
    .language:       OpenCL C
    .language_version:
      - 2
      - 0
    .max_flat_workgroup_size: 231
    .name:           fft_rtc_fwd_len1617_factors_3_7_7_11_wgs_231_tpt_231_dp_op_CI_CI_unitstride_sbrr_dirReg
    .private_segment_fixed_size: 0
    .sgpr_count:     38
    .sgpr_spill_count: 0
    .symbol:         fft_rtc_fwd_len1617_factors_3_7_7_11_wgs_231_tpt_231_dp_op_CI_CI_unitstride_sbrr_dirReg.kd
    .uniform_work_group_size: 1
    .uses_dynamic_stack: false
    .vgpr_count:     207
    .vgpr_spill_count: 0
    .wavefront_size: 32
    .workgroup_processor_mode: 1
amdhsa.target:   amdgcn-amd-amdhsa--gfx1100
amdhsa.version:
  - 1
  - 2
...

	.end_amdgpu_metadata
